;; amdgpu-corpus repo=tuanlda78202/gpt-oss-amd kind=compiled arch=gfx906 opt=O3
	.amdgcn_target "amdgcn-amd-amdhsa--gfx906"
	.amdhsa_code_object_version 6
	.text
	.protected	_Z19embed_kernel_scalarPK14__hip_bfloat16PKiPfii ; -- Begin function _Z19embed_kernel_scalarPK14__hip_bfloat16PKiPfii
	.globl	_Z19embed_kernel_scalarPK14__hip_bfloat16PKiPfii
	.p2align	8
	.type	_Z19embed_kernel_scalarPK14__hip_bfloat16PKiPfii,@function
_Z19embed_kernel_scalarPK14__hip_bfloat16PKiPfii: ; @_Z19embed_kernel_scalarPK14__hip_bfloat16PKiPfii
; %bb.0:
	s_load_dword s1, s[4:5], 0x2c
	s_load_dwordx2 s[2:3], s[4:5], 0x18
	s_mov_b32 s0, s7
	s_waitcnt lgkmcnt(0)
	s_and_b32 s1, s1, 0xffff
	s_mul_i32 s6, s6, s1
	v_add_u32_e32 v1, s6, v0
	s_cmp_lt_i32 s7, s2
	s_cselect_b64 s[6:7], -1, 0
	v_cmp_gt_i32_e32 vcc, s3, v1
	s_and_b64 s[6:7], s[6:7], vcc
	s_and_saveexec_b64 s[8:9], s[6:7]
	s_cbranch_execz .LBB0_4
; %bb.1:
	s_load_dwordx2 s[8:9], s[4:5], 0x0
	s_load_dwordx2 s[6:7], s[4:5], 0x10
	v_cmp_eq_u32_e32 vcc, 0, v0
	s_and_saveexec_b64 s[10:11], vcc
	s_cbranch_execz .LBB0_3
; %bb.2:
	s_load_dwordx2 s[4:5], s[4:5], 0x8
	s_ashr_i32 s1, s0, 31
	s_lshl_b64 s[12:13], s[0:1], 2
	v_mov_b32_e32 v0, 0
	s_waitcnt lgkmcnt(0)
	s_add_u32 s4, s4, s12
	s_addc_u32 s5, s5, s13
	s_load_dword s1, s[4:5], 0x0
	s_waitcnt lgkmcnt(0)
	v_mov_b32_e32 v2, s1
	ds_write_b32 v0, v2
.LBB0_3:
	s_or_b64 exec, exec, s[10:11]
	v_mov_b32_e32 v0, 0
	s_waitcnt lgkmcnt(0)
	s_barrier
	ds_read_b32 v0, v0
	v_mov_b32_e32 v4, s9
	s_mul_i32 s0, s3, s0
	s_waitcnt lgkmcnt(0)
	v_mul_lo_u32 v0, v0, s3
	v_add_u32_e32 v2, v0, v1
	v_ashrrev_i32_e32 v3, 31, v2
	v_lshlrev_b64 v[2:3], 1, v[2:3]
	v_add_u32_e32 v0, s0, v1
	v_add_co_u32_e32 v2, vcc, s8, v2
	v_addc_co_u32_e32 v3, vcc, v4, v3, vcc
	global_load_ushort v2, v[2:3], off
	v_ashrrev_i32_e32 v1, 31, v0
	v_lshlrev_b64 v[0:1], 2, v[0:1]
	v_mov_b32_e32 v3, s7
	v_add_co_u32_e32 v0, vcc, s6, v0
	v_addc_co_u32_e32 v1, vcc, v3, v1, vcc
	s_waitcnt vmcnt(0)
	v_lshlrev_b32_e32 v2, 16, v2
	global_store_dword v[0:1], v2, off
.LBB0_4:
	s_endpgm
	.section	.rodata,"a",@progbits
	.p2align	6, 0x0
	.amdhsa_kernel _Z19embed_kernel_scalarPK14__hip_bfloat16PKiPfii
		.amdhsa_group_segment_fixed_size 4
		.amdhsa_private_segment_fixed_size 0
		.amdhsa_kernarg_size 288
		.amdhsa_user_sgpr_count 6
		.amdhsa_user_sgpr_private_segment_buffer 1
		.amdhsa_user_sgpr_dispatch_ptr 0
		.amdhsa_user_sgpr_queue_ptr 0
		.amdhsa_user_sgpr_kernarg_segment_ptr 1
		.amdhsa_user_sgpr_dispatch_id 0
		.amdhsa_user_sgpr_flat_scratch_init 0
		.amdhsa_user_sgpr_private_segment_size 0
		.amdhsa_uses_dynamic_stack 0
		.amdhsa_system_sgpr_private_segment_wavefront_offset 0
		.amdhsa_system_sgpr_workgroup_id_x 1
		.amdhsa_system_sgpr_workgroup_id_y 1
		.amdhsa_system_sgpr_workgroup_id_z 0
		.amdhsa_system_sgpr_workgroup_info 0
		.amdhsa_system_vgpr_workitem_id 0
		.amdhsa_next_free_vgpr 5
		.amdhsa_next_free_sgpr 14
		.amdhsa_reserve_vcc 1
		.amdhsa_reserve_flat_scratch 0
		.amdhsa_float_round_mode_32 0
		.amdhsa_float_round_mode_16_64 0
		.amdhsa_float_denorm_mode_32 3
		.amdhsa_float_denorm_mode_16_64 3
		.amdhsa_dx10_clamp 1
		.amdhsa_ieee_mode 1
		.amdhsa_fp16_overflow 0
		.amdhsa_exception_fp_ieee_invalid_op 0
		.amdhsa_exception_fp_denorm_src 0
		.amdhsa_exception_fp_ieee_div_zero 0
		.amdhsa_exception_fp_ieee_overflow 0
		.amdhsa_exception_fp_ieee_underflow 0
		.amdhsa_exception_fp_ieee_inexact 0
		.amdhsa_exception_int_div_zero 0
	.end_amdhsa_kernel
	.text
.Lfunc_end0:
	.size	_Z19embed_kernel_scalarPK14__hip_bfloat16PKiPfii, .Lfunc_end0-_Z19embed_kernel_scalarPK14__hip_bfloat16PKiPfii
                                        ; -- End function
	.set _Z19embed_kernel_scalarPK14__hip_bfloat16PKiPfii.num_vgpr, 5
	.set _Z19embed_kernel_scalarPK14__hip_bfloat16PKiPfii.num_agpr, 0
	.set _Z19embed_kernel_scalarPK14__hip_bfloat16PKiPfii.numbered_sgpr, 14
	.set _Z19embed_kernel_scalarPK14__hip_bfloat16PKiPfii.num_named_barrier, 0
	.set _Z19embed_kernel_scalarPK14__hip_bfloat16PKiPfii.private_seg_size, 0
	.set _Z19embed_kernel_scalarPK14__hip_bfloat16PKiPfii.uses_vcc, 1
	.set _Z19embed_kernel_scalarPK14__hip_bfloat16PKiPfii.uses_flat_scratch, 0
	.set _Z19embed_kernel_scalarPK14__hip_bfloat16PKiPfii.has_dyn_sized_stack, 0
	.set _Z19embed_kernel_scalarPK14__hip_bfloat16PKiPfii.has_recursion, 0
	.set _Z19embed_kernel_scalarPK14__hip_bfloat16PKiPfii.has_indirect_call, 0
	.section	.AMDGPU.csdata,"",@progbits
; Kernel info:
; codeLenInByte = 272
; TotalNumSgprs: 18
; NumVgprs: 5
; ScratchSize: 0
; MemoryBound: 0
; FloatMode: 240
; IeeeMode: 1
; LDSByteSize: 4 bytes/workgroup (compile time only)
; SGPRBlocks: 2
; VGPRBlocks: 1
; NumSGPRsForWavesPerEU: 18
; NumVGPRsForWavesPerEU: 5
; Occupancy: 10
; WaveLimiterHint : 0
; COMPUTE_PGM_RSRC2:SCRATCH_EN: 0
; COMPUTE_PGM_RSRC2:USER_SGPR: 6
; COMPUTE_PGM_RSRC2:TRAP_HANDLER: 0
; COMPUTE_PGM_RSRC2:TGID_X_EN: 1
; COMPUTE_PGM_RSRC2:TGID_Y_EN: 1
; COMPUTE_PGM_RSRC2:TGID_Z_EN: 0
; COMPUTE_PGM_RSRC2:TIDIG_COMP_CNT: 0
	.section	.text._Z16embed_kernel_vecILi8EEvPK14__hip_bfloat16PKiPfii,"axG",@progbits,_Z16embed_kernel_vecILi8EEvPK14__hip_bfloat16PKiPfii,comdat
	.protected	_Z16embed_kernel_vecILi8EEvPK14__hip_bfloat16PKiPfii ; -- Begin function _Z16embed_kernel_vecILi8EEvPK14__hip_bfloat16PKiPfii
	.globl	_Z16embed_kernel_vecILi8EEvPK14__hip_bfloat16PKiPfii
	.p2align	8
	.type	_Z16embed_kernel_vecILi8EEvPK14__hip_bfloat16PKiPfii,@function
_Z16embed_kernel_vecILi8EEvPK14__hip_bfloat16PKiPfii: ; @_Z16embed_kernel_vecILi8EEvPK14__hip_bfloat16PKiPfii
; %bb.0:
	s_load_dword s2, s[4:5], 0x2c
	s_load_dwordx2 s[0:1], s[4:5], 0x18
	s_mov_b32 s12, s7
	s_waitcnt lgkmcnt(0)
	s_and_b32 s2, s2, 0xffff
	s_mul_i32 s6, s6, s2
	v_add_lshl_u32 v0, s6, v0, 3
	s_cmp_lt_i32 s7, s0
	s_cselect_b64 s[2:3], -1, 0
	v_cmp_gt_i32_e32 vcc, s1, v0
	s_and_b64 s[2:3], s[2:3], vcc
	s_and_saveexec_b64 s[6:7], s[2:3]
	s_cbranch_execz .LBB1_11
; %bb.1:
	s_load_dwordx4 s[8:11], s[4:5], 0x0
	s_load_dwordx2 s[2:3], s[4:5], 0x10
	s_ashr_i32 s13, s12, 31
	s_lshl_b64 s[4:5], s[12:13], 2
	v_sub_u32_e32 v2, s1, v0
	s_waitcnt lgkmcnt(0)
	s_add_u32 s4, s10, s4
	s_addc_u32 s5, s11, s5
	s_load_dword s0, s[4:5], 0x0
	v_ashrrev_i32_e32 v1, 31, v0
	s_mul_hi_i32 s5, s1, s12
	s_mul_i32 s4, s1, s12
	v_min_i32_e32 v6, 8, v2
	s_waitcnt lgkmcnt(0)
	s_mul_hi_i32 s7, s0, s1
	s_mul_i32 s6, s0, s1
	v_cmp_lt_i32_e32 vcc, 1, v2
	s_and_saveexec_b64 s[10:11], vcc
	s_cbranch_execz .LBB1_9
; %bb.2:
	v_lshrrev_b32_e32 v3, 1, v6
	v_max_u32_e32 v8, 1, v3
	v_cmp_lt_i32_e32 vcc, 7, v2
	v_mov_b32_e32 v7, 0
	s_and_saveexec_b64 s[12:13], vcc
	s_cbranch_execz .LBB1_6
; %bb.3:
	s_lshl_b64 s[14:15], s[4:5], 2
	v_lshlrev_b64 v[2:3], 2, v[0:1]
	s_add_u32 s0, s2, s14
	s_addc_u32 s14, s3, s15
	v_mov_b32_e32 v4, s14
	v_add_co_u32_e32 v2, vcc, s0, v2
	v_addc_co_u32_e32 v3, vcc, v4, v3, vcc
	s_lshl_b64 s[14:15], s[6:7], 1
	v_add_co_u32_e32 v2, vcc, 28, v2
	v_lshlrev_b64 v[4:5], 1, v[0:1]
	s_add_u32 s0, s8, s14
	v_addc_co_u32_e32 v3, vcc, 0, v3, vcc
	s_addc_u32 s14, s9, s15
	v_mov_b32_e32 v9, s14
	v_add_co_u32_e32 v4, vcc, s0, v4
	v_addc_co_u32_e32 v5, vcc, v9, v5, vcc
	v_add_co_u32_e32 v4, vcc, 8, v4
	v_and_b32_e32 v7, 4, v8
	v_addc_co_u32_e32 v5, vcc, 0, v5, vcc
	s_mov_b32 s0, 0
	s_mov_b64 s[14:15], 0
.LBB1_4:                                ; =>This Inner Loop Header: Depth=1
	global_load_dwordx4 v[9:12], v[4:5], off offset:-8
	v_add_co_u32_e32 v4, vcc, 16, v4
	s_add_i32 s0, s0, 4
	v_addc_co_u32_e32 v5, vcc, 0, v5, vcc
	v_cmp_eq_u32_e32 vcc, s0, v7
	s_or_b64 s[14:15], vcc, s[14:15]
	s_waitcnt vmcnt(0)
	v_lshlrev_b32_e32 v13, 16, v9
	v_and_b32_e32 v14, 0xffff0000, v9
	v_lshlrev_b32_e32 v15, 16, v10
	v_and_b32_e32 v16, 0xffff0000, v10
	;; [unrolled: 2-line block ×4, first 2 shown]
	global_store_dwordx4 v[2:3], v[13:16], off offset:-28
	global_store_dwordx4 v[2:3], v[9:12], off offset:-12
	v_add_co_u32_e32 v2, vcc, 32, v2
	v_addc_co_u32_e32 v3, vcc, 0, v3, vcc
	s_andn2_b64 exec, exec, s[14:15]
	s_cbranch_execnz .LBB1_4
; %bb.5:
	s_or_b64 exec, exec, s[14:15]
.LBB1_6:
	s_or_b64 exec, exec, s[12:13]
	v_and_b32_e32 v8, 3, v8
	v_cmp_ne_u32_e32 vcc, 0, v8
	s_and_b64 exec, exec, vcc
	s_cbranch_execz .LBB1_9
; %bb.7:
	s_lshl_b64 s[12:13], s[4:5], 2
	v_lshlrev_b32_e32 v2, 3, v7
	v_mov_b32_e32 v3, s13
	v_add_co_u32_e32 v4, vcc, s12, v2
	v_addc_co_u32_e32 v5, vcc, 0, v3, vcc
	v_lshlrev_b64 v[2:3], 2, v[0:1]
	s_lshl_b64 s[12:13], s[6:7], 1
	v_add_co_u32_e32 v2, vcc, v4, v2
	v_addc_co_u32_e32 v3, vcc, v5, v3, vcc
	v_mov_b32_e32 v4, s3
	v_add_co_u32_e32 v2, vcc, s2, v2
	v_addc_co_u32_e32 v3, vcc, v4, v3, vcc
	v_add_co_u32_e32 v2, vcc, 4, v2
	v_addc_co_u32_e32 v3, vcc, 0, v3, vcc
	v_lshlrev_b32_e32 v4, 2, v7
	v_mov_b32_e32 v5, s13
	v_add_co_u32_e32 v7, vcc, s12, v4
	v_addc_co_u32_e32 v9, vcc, 0, v5, vcc
	v_lshlrev_b64 v[4:5], 1, v[0:1]
	s_mov_b64 s[12:13], 0
	v_add_co_u32_e32 v4, vcc, v7, v4
	v_addc_co_u32_e32 v5, vcc, v9, v5, vcc
	v_mov_b32_e32 v7, s9
	v_add_co_u32_e32 v4, vcc, s8, v4
	v_addc_co_u32_e32 v5, vcc, v7, v5, vcc
	v_add_co_u32_e32 v4, vcc, 2, v4
	v_addc_co_u32_e32 v5, vcc, 0, v5, vcc
.LBB1_8:                                ; =>This Inner Loop Header: Depth=1
	global_load_dword v7, v[4:5], off offset:-2
	v_add_co_u32_e32 v4, vcc, 4, v4
	v_add_u32_e32 v8, -1, v8
	v_addc_co_u32_e32 v5, vcc, 0, v5, vcc
	v_cmp_eq_u32_e32 vcc, 0, v8
	s_or_b64 s[12:13], vcc, s[12:13]
	s_waitcnt vmcnt(0)
	v_lshlrev_b32_e32 v9, 16, v7
	v_and_b32_e32 v10, 0xffff0000, v7
	global_store_dwordx2 v[2:3], v[9:10], off offset:-4
	v_add_co_u32_e32 v2, vcc, 8, v2
	v_addc_co_u32_e32 v3, vcc, 0, v3, vcc
	s_andn2_b64 exec, exec, s[12:13]
	s_cbranch_execnz .LBB1_8
.LBB1_9:
	s_or_b64 exec, exec, s[10:11]
	v_and_b32_e32 v2, -2, v6
	v_add_u32_e32 v3, v2, v0
	v_cmp_gt_i32_e32 vcc, 8, v2
	v_cmp_gt_i32_e64 s[0:1], s1, v3
	s_and_b64 s[0:1], vcc, s[0:1]
	s_and_b64 exec, exec, s[0:1]
	s_cbranch_execz .LBB1_11
; %bb.10:
	s_lshl_b64 s[0:1], s[6:7], 1
	s_add_u32 s0, s8, s0
	v_lshlrev_b64 v[3:4], 1, v[0:1]
	s_addc_u32 s1, s9, s1
	v_mov_b32_e32 v5, s1
	v_add_co_u32_e32 v6, vcc, s0, v3
	v_ashrrev_i32_e32 v3, 31, v2
	v_addc_co_u32_e32 v7, vcc, v5, v4, vcc
	v_lshlrev_b64 v[4:5], 1, v[2:3]
	s_lshl_b64 s[0:1], s[4:5], 2
	v_add_co_u32_e32 v4, vcc, v6, v4
	v_addc_co_u32_e32 v5, vcc, v7, v5, vcc
	global_load_ushort v4, v[4:5], off
	s_add_u32 s0, s2, s0
	v_lshlrev_b64 v[0:1], 2, v[0:1]
	s_addc_u32 s1, s3, s1
	v_mov_b32_e32 v5, s1
	v_add_co_u32_e32 v6, vcc, s0, v0
	v_addc_co_u32_e32 v5, vcc, v5, v1, vcc
	v_lshlrev_b64 v[0:1], 2, v[2:3]
	v_add_co_u32_e32 v0, vcc, v6, v0
	v_addc_co_u32_e32 v1, vcc, v5, v1, vcc
	s_waitcnt vmcnt(0)
	v_lshlrev_b32_e32 v2, 16, v4
	global_store_dword v[0:1], v2, off
.LBB1_11:
	s_endpgm
	.section	.rodata,"a",@progbits
	.p2align	6, 0x0
	.amdhsa_kernel _Z16embed_kernel_vecILi8EEvPK14__hip_bfloat16PKiPfii
		.amdhsa_group_segment_fixed_size 0
		.amdhsa_private_segment_fixed_size 0
		.amdhsa_kernarg_size 288
		.amdhsa_user_sgpr_count 6
		.amdhsa_user_sgpr_private_segment_buffer 1
		.amdhsa_user_sgpr_dispatch_ptr 0
		.amdhsa_user_sgpr_queue_ptr 0
		.amdhsa_user_sgpr_kernarg_segment_ptr 1
		.amdhsa_user_sgpr_dispatch_id 0
		.amdhsa_user_sgpr_flat_scratch_init 0
		.amdhsa_user_sgpr_private_segment_size 0
		.amdhsa_uses_dynamic_stack 0
		.amdhsa_system_sgpr_private_segment_wavefront_offset 0
		.amdhsa_system_sgpr_workgroup_id_x 1
		.amdhsa_system_sgpr_workgroup_id_y 1
		.amdhsa_system_sgpr_workgroup_id_z 0
		.amdhsa_system_sgpr_workgroup_info 0
		.amdhsa_system_vgpr_workitem_id 0
		.amdhsa_next_free_vgpr 17
		.amdhsa_next_free_sgpr 16
		.amdhsa_reserve_vcc 1
		.amdhsa_reserve_flat_scratch 0
		.amdhsa_float_round_mode_32 0
		.amdhsa_float_round_mode_16_64 0
		.amdhsa_float_denorm_mode_32 3
		.amdhsa_float_denorm_mode_16_64 3
		.amdhsa_dx10_clamp 1
		.amdhsa_ieee_mode 1
		.amdhsa_fp16_overflow 0
		.amdhsa_exception_fp_ieee_invalid_op 0
		.amdhsa_exception_fp_denorm_src 0
		.amdhsa_exception_fp_ieee_div_zero 0
		.amdhsa_exception_fp_ieee_overflow 0
		.amdhsa_exception_fp_ieee_underflow 0
		.amdhsa_exception_fp_ieee_inexact 0
		.amdhsa_exception_int_div_zero 0
	.end_amdhsa_kernel
	.section	.text._Z16embed_kernel_vecILi8EEvPK14__hip_bfloat16PKiPfii,"axG",@progbits,_Z16embed_kernel_vecILi8EEvPK14__hip_bfloat16PKiPfii,comdat
.Lfunc_end1:
	.size	_Z16embed_kernel_vecILi8EEvPK14__hip_bfloat16PKiPfii, .Lfunc_end1-_Z16embed_kernel_vecILi8EEvPK14__hip_bfloat16PKiPfii
                                        ; -- End function
	.set _Z16embed_kernel_vecILi8EEvPK14__hip_bfloat16PKiPfii.num_vgpr, 17
	.set _Z16embed_kernel_vecILi8EEvPK14__hip_bfloat16PKiPfii.num_agpr, 0
	.set _Z16embed_kernel_vecILi8EEvPK14__hip_bfloat16PKiPfii.numbered_sgpr, 16
	.set _Z16embed_kernel_vecILi8EEvPK14__hip_bfloat16PKiPfii.num_named_barrier, 0
	.set _Z16embed_kernel_vecILi8EEvPK14__hip_bfloat16PKiPfii.private_seg_size, 0
	.set _Z16embed_kernel_vecILi8EEvPK14__hip_bfloat16PKiPfii.uses_vcc, 1
	.set _Z16embed_kernel_vecILi8EEvPK14__hip_bfloat16PKiPfii.uses_flat_scratch, 0
	.set _Z16embed_kernel_vecILi8EEvPK14__hip_bfloat16PKiPfii.has_dyn_sized_stack, 0
	.set _Z16embed_kernel_vecILi8EEvPK14__hip_bfloat16PKiPfii.has_recursion, 0
	.set _Z16embed_kernel_vecILi8EEvPK14__hip_bfloat16PKiPfii.has_indirect_call, 0
	.section	.AMDGPU.csdata,"",@progbits
; Kernel info:
; codeLenInByte = 756
; TotalNumSgprs: 20
; NumVgprs: 17
; ScratchSize: 0
; MemoryBound: 0
; FloatMode: 240
; IeeeMode: 1
; LDSByteSize: 0 bytes/workgroup (compile time only)
; SGPRBlocks: 2
; VGPRBlocks: 4
; NumSGPRsForWavesPerEU: 20
; NumVGPRsForWavesPerEU: 17
; Occupancy: 10
; WaveLimiterHint : 1
; COMPUTE_PGM_RSRC2:SCRATCH_EN: 0
; COMPUTE_PGM_RSRC2:USER_SGPR: 6
; COMPUTE_PGM_RSRC2:TRAP_HANDLER: 0
; COMPUTE_PGM_RSRC2:TGID_X_EN: 1
; COMPUTE_PGM_RSRC2:TGID_Y_EN: 1
; COMPUTE_PGM_RSRC2:TGID_Z_EN: 0
; COMPUTE_PGM_RSRC2:TIDIG_COMP_CNT: 0
	.section	.text._Z16embed_kernel_vecILi2EEvPK14__hip_bfloat16PKiPfii,"axG",@progbits,_Z16embed_kernel_vecILi2EEvPK14__hip_bfloat16PKiPfii,comdat
	.protected	_Z16embed_kernel_vecILi2EEvPK14__hip_bfloat16PKiPfii ; -- Begin function _Z16embed_kernel_vecILi2EEvPK14__hip_bfloat16PKiPfii
	.globl	_Z16embed_kernel_vecILi2EEvPK14__hip_bfloat16PKiPfii
	.p2align	8
	.type	_Z16embed_kernel_vecILi2EEvPK14__hip_bfloat16PKiPfii,@function
_Z16embed_kernel_vecILi2EEvPK14__hip_bfloat16PKiPfii: ; @_Z16embed_kernel_vecILi2EEvPK14__hip_bfloat16PKiPfii
; %bb.0:
	s_load_dword s1, s[4:5], 0x2c
	s_load_dwordx2 s[2:3], s[4:5], 0x18
	s_mov_b32 s0, s7
	s_waitcnt lgkmcnt(0)
	s_and_b32 s1, s1, 0xffff
	s_mul_i32 s6, s6, s1
	v_add_lshl_u32 v0, s6, v0, 1
	s_cmp_lt_i32 s7, s2
	s_cselect_b64 s[6:7], -1, 0
	v_cmp_gt_i32_e32 vcc, s3, v0
	s_and_b64 s[6:7], s[6:7], vcc
	s_and_saveexec_b64 s[8:9], s[6:7]
	s_cbranch_execz .LBB2_5
; %bb.1:
	s_load_dwordx4 s[8:11], s[4:5], 0x0
	s_load_dwordx2 s[6:7], s[4:5], 0x10
	s_ashr_i32 s1, s0, 31
	s_lshl_b64 s[4:5], s[0:1], 2
	v_ashrrev_i32_e32 v1, 31, v0
	s_waitcnt lgkmcnt(0)
	s_add_u32 s4, s10, s4
	s_addc_u32 s5, s11, s5
	s_load_dword s1, s[4:5], 0x0
	v_lshlrev_b64 v[2:3], 1, v[0:1]
	s_waitcnt lgkmcnt(0)
	s_mul_hi_i32 s5, s1, s3
	s_mul_i32 s4, s1, s3
	s_lshl_b64 s[4:5], s[4:5], 1
	s_add_u32 s1, s8, s4
	s_addc_u32 s2, s9, s5
	v_add_co_u32_e32 v2, vcc, s1, v2
	s_mul_hi_i32 s1, s3, s0
	s_mul_i32 s0, s3, s0
	v_mov_b32_e32 v4, s2
	s_lshl_b64 s[0:1], s[0:1], 2
	v_addc_co_u32_e32 v3, vcc, v4, v3, vcc
	s_add_u32 s0, s6, s0
	v_lshlrev_b64 v[4:5], 2, v[0:1]
	s_addc_u32 s1, s7, s1
	v_mov_b32_e32 v1, s1
	v_add_co_u32_e32 v4, vcc, s0, v4
	v_addc_co_u32_e32 v5, vcc, v1, v5, vcc
	v_sub_u32_e32 v1, s3, v0
	v_cmp_gt_i32_e32 vcc, 2, v1
	v_cmp_lt_i32_e64 s[0:1], 1, v1
	s_and_saveexec_b64 s[4:5], s[0:1]
	s_cbranch_execz .LBB2_3
; %bb.2:
	global_load_dword v7, v[2:3], off
	s_waitcnt vmcnt(0)
	v_lshlrev_b32_e32 v6, 16, v7
	v_and_b32_e32 v7, 0xffff0000, v7
	global_store_dwordx2 v[4:5], v[6:7], off
.LBB2_3:
	s_or_b64 exec, exec, s[4:5]
	v_min_i32_e32 v1, 2, v1
	v_and_b32_e32 v6, -2, v1
	v_add_u32_e32 v0, v6, v0
	v_cmp_gt_i32_e64 s[0:1], s3, v0
	s_and_b64 s[0:1], vcc, s[0:1]
	s_and_b64 exec, exec, s[0:1]
	s_cbranch_execz .LBB2_5
; %bb.4:
	v_ashrrev_i32_e32 v7, 31, v6
	v_lshlrev_b64 v[0:1], 1, v[6:7]
	v_add_co_u32_e32 v0, vcc, v2, v0
	v_addc_co_u32_e32 v1, vcc, v3, v1, vcc
	global_load_ushort v2, v[0:1], off
	v_lshlrev_b64 v[0:1], 2, v[6:7]
	v_add_co_u32_e32 v0, vcc, v4, v0
	v_addc_co_u32_e32 v1, vcc, v5, v1, vcc
	s_waitcnt vmcnt(0)
	v_lshlrev_b32_e32 v2, 16, v2
	global_store_dword v[0:1], v2, off
.LBB2_5:
	s_endpgm
	.section	.rodata,"a",@progbits
	.p2align	6, 0x0
	.amdhsa_kernel _Z16embed_kernel_vecILi2EEvPK14__hip_bfloat16PKiPfii
		.amdhsa_group_segment_fixed_size 0
		.amdhsa_private_segment_fixed_size 0
		.amdhsa_kernarg_size 288
		.amdhsa_user_sgpr_count 6
		.amdhsa_user_sgpr_private_segment_buffer 1
		.amdhsa_user_sgpr_dispatch_ptr 0
		.amdhsa_user_sgpr_queue_ptr 0
		.amdhsa_user_sgpr_kernarg_segment_ptr 1
		.amdhsa_user_sgpr_dispatch_id 0
		.amdhsa_user_sgpr_flat_scratch_init 0
		.amdhsa_user_sgpr_private_segment_size 0
		.amdhsa_uses_dynamic_stack 0
		.amdhsa_system_sgpr_private_segment_wavefront_offset 0
		.amdhsa_system_sgpr_workgroup_id_x 1
		.amdhsa_system_sgpr_workgroup_id_y 1
		.amdhsa_system_sgpr_workgroup_id_z 0
		.amdhsa_system_sgpr_workgroup_info 0
		.amdhsa_system_vgpr_workitem_id 0
		.amdhsa_next_free_vgpr 8
		.amdhsa_next_free_sgpr 12
		.amdhsa_reserve_vcc 1
		.amdhsa_reserve_flat_scratch 0
		.amdhsa_float_round_mode_32 0
		.amdhsa_float_round_mode_16_64 0
		.amdhsa_float_denorm_mode_32 3
		.amdhsa_float_denorm_mode_16_64 3
		.amdhsa_dx10_clamp 1
		.amdhsa_ieee_mode 1
		.amdhsa_fp16_overflow 0
		.amdhsa_exception_fp_ieee_invalid_op 0
		.amdhsa_exception_fp_denorm_src 0
		.amdhsa_exception_fp_ieee_div_zero 0
		.amdhsa_exception_fp_ieee_overflow 0
		.amdhsa_exception_fp_ieee_underflow 0
		.amdhsa_exception_fp_ieee_inexact 0
		.amdhsa_exception_int_div_zero 0
	.end_amdhsa_kernel
	.section	.text._Z16embed_kernel_vecILi2EEvPK14__hip_bfloat16PKiPfii,"axG",@progbits,_Z16embed_kernel_vecILi2EEvPK14__hip_bfloat16PKiPfii,comdat
.Lfunc_end2:
	.size	_Z16embed_kernel_vecILi2EEvPK14__hip_bfloat16PKiPfii, .Lfunc_end2-_Z16embed_kernel_vecILi2EEvPK14__hip_bfloat16PKiPfii
                                        ; -- End function
	.set _Z16embed_kernel_vecILi2EEvPK14__hip_bfloat16PKiPfii.num_vgpr, 8
	.set _Z16embed_kernel_vecILi2EEvPK14__hip_bfloat16PKiPfii.num_agpr, 0
	.set _Z16embed_kernel_vecILi2EEvPK14__hip_bfloat16PKiPfii.numbered_sgpr, 12
	.set _Z16embed_kernel_vecILi2EEvPK14__hip_bfloat16PKiPfii.num_named_barrier, 0
	.set _Z16embed_kernel_vecILi2EEvPK14__hip_bfloat16PKiPfii.private_seg_size, 0
	.set _Z16embed_kernel_vecILi2EEvPK14__hip_bfloat16PKiPfii.uses_vcc, 1
	.set _Z16embed_kernel_vecILi2EEvPK14__hip_bfloat16PKiPfii.uses_flat_scratch, 0
	.set _Z16embed_kernel_vecILi2EEvPK14__hip_bfloat16PKiPfii.has_dyn_sized_stack, 0
	.set _Z16embed_kernel_vecILi2EEvPK14__hip_bfloat16PKiPfii.has_recursion, 0
	.set _Z16embed_kernel_vecILi2EEvPK14__hip_bfloat16PKiPfii.has_indirect_call, 0
	.section	.AMDGPU.csdata,"",@progbits
; Kernel info:
; codeLenInByte = 356
; TotalNumSgprs: 16
; NumVgprs: 8
; ScratchSize: 0
; MemoryBound: 0
; FloatMode: 240
; IeeeMode: 1
; LDSByteSize: 0 bytes/workgroup (compile time only)
; SGPRBlocks: 1
; VGPRBlocks: 1
; NumSGPRsForWavesPerEU: 16
; NumVGPRsForWavesPerEU: 8
; Occupancy: 10
; WaveLimiterHint : 1
; COMPUTE_PGM_RSRC2:SCRATCH_EN: 0
; COMPUTE_PGM_RSRC2:USER_SGPR: 6
; COMPUTE_PGM_RSRC2:TRAP_HANDLER: 0
; COMPUTE_PGM_RSRC2:TGID_X_EN: 1
; COMPUTE_PGM_RSRC2:TGID_Y_EN: 1
; COMPUTE_PGM_RSRC2:TGID_Z_EN: 0
; COMPUTE_PGM_RSRC2:TIDIG_COMP_CNT: 0
	.section	.AMDGPU.gpr_maximums,"",@progbits
	.set amdgpu.max_num_vgpr, 0
	.set amdgpu.max_num_agpr, 0
	.set amdgpu.max_num_sgpr, 0
	.section	.AMDGPU.csdata,"",@progbits
	.type	__hip_cuid_74ec2386b0859e75,@object ; @__hip_cuid_74ec2386b0859e75
	.section	.bss,"aw",@nobits
	.globl	__hip_cuid_74ec2386b0859e75
__hip_cuid_74ec2386b0859e75:
	.byte	0                               ; 0x0
	.size	__hip_cuid_74ec2386b0859e75, 1

	.ident	"AMD clang version 22.0.0git (https://github.com/RadeonOpenCompute/llvm-project roc-7.2.4 26084 f58b06dce1f9c15707c5f808fd002e18c2accf7e)"
	.section	".note.GNU-stack","",@progbits
	.addrsig
	.addrsig_sym __hip_cuid_74ec2386b0859e75
	.amdgpu_metadata
---
amdhsa.kernels:
  - .args:
      - .actual_access:  read_only
        .address_space:  global
        .offset:         0
        .size:           8
        .value_kind:     global_buffer
      - .actual_access:  read_only
        .address_space:  global
        .offset:         8
        .size:           8
        .value_kind:     global_buffer
      - .actual_access:  write_only
        .address_space:  global
        .offset:         16
        .size:           8
        .value_kind:     global_buffer
      - .offset:         24
        .size:           4
        .value_kind:     by_value
      - .offset:         28
        .size:           4
        .value_kind:     by_value
      - .offset:         32
        .size:           4
        .value_kind:     hidden_block_count_x
      - .offset:         36
        .size:           4
        .value_kind:     hidden_block_count_y
      - .offset:         40
        .size:           4
        .value_kind:     hidden_block_count_z
      - .offset:         44
        .size:           2
        .value_kind:     hidden_group_size_x
      - .offset:         46
        .size:           2
        .value_kind:     hidden_group_size_y
      - .offset:         48
        .size:           2
        .value_kind:     hidden_group_size_z
      - .offset:         50
        .size:           2
        .value_kind:     hidden_remainder_x
      - .offset:         52
        .size:           2
        .value_kind:     hidden_remainder_y
      - .offset:         54
        .size:           2
        .value_kind:     hidden_remainder_z
      - .offset:         72
        .size:           8
        .value_kind:     hidden_global_offset_x
      - .offset:         80
        .size:           8
        .value_kind:     hidden_global_offset_y
      - .offset:         88
        .size:           8
        .value_kind:     hidden_global_offset_z
      - .offset:         96
        .size:           2
        .value_kind:     hidden_grid_dims
    .group_segment_fixed_size: 4
    .kernarg_segment_align: 8
    .kernarg_segment_size: 288
    .language:       OpenCL C
    .language_version:
      - 2
      - 0
    .max_flat_workgroup_size: 256
    .name:           _Z19embed_kernel_scalarPK14__hip_bfloat16PKiPfii
    .private_segment_fixed_size: 0
    .sgpr_count:     18
    .sgpr_spill_count: 0
    .symbol:         _Z19embed_kernel_scalarPK14__hip_bfloat16PKiPfii.kd
    .uniform_work_group_size: 1
    .uses_dynamic_stack: false
    .vgpr_count:     5
    .vgpr_spill_count: 0
    .wavefront_size: 64
  - .args:
      - .actual_access:  read_only
        .address_space:  global
        .offset:         0
        .size:           8
        .value_kind:     global_buffer
      - .actual_access:  read_only
        .address_space:  global
        .offset:         8
        .size:           8
        .value_kind:     global_buffer
      - .actual_access:  write_only
        .address_space:  global
        .offset:         16
        .size:           8
        .value_kind:     global_buffer
      - .offset:         24
        .size:           4
        .value_kind:     by_value
      - .offset:         28
        .size:           4
        .value_kind:     by_value
      - .offset:         32
        .size:           4
        .value_kind:     hidden_block_count_x
      - .offset:         36
        .size:           4
        .value_kind:     hidden_block_count_y
      - .offset:         40
        .size:           4
        .value_kind:     hidden_block_count_z
      - .offset:         44
        .size:           2
        .value_kind:     hidden_group_size_x
      - .offset:         46
        .size:           2
        .value_kind:     hidden_group_size_y
      - .offset:         48
        .size:           2
        .value_kind:     hidden_group_size_z
      - .offset:         50
        .size:           2
        .value_kind:     hidden_remainder_x
      - .offset:         52
        .size:           2
        .value_kind:     hidden_remainder_y
      - .offset:         54
        .size:           2
        .value_kind:     hidden_remainder_z
      - .offset:         72
        .size:           8
        .value_kind:     hidden_global_offset_x
      - .offset:         80
        .size:           8
        .value_kind:     hidden_global_offset_y
      - .offset:         88
        .size:           8
        .value_kind:     hidden_global_offset_z
      - .offset:         96
        .size:           2
        .value_kind:     hidden_grid_dims
    .group_segment_fixed_size: 0
    .kernarg_segment_align: 8
    .kernarg_segment_size: 288
    .language:       OpenCL C
    .language_version:
      - 2
      - 0
    .max_flat_workgroup_size: 256
    .name:           _Z16embed_kernel_vecILi8EEvPK14__hip_bfloat16PKiPfii
    .private_segment_fixed_size: 0
    .sgpr_count:     20
    .sgpr_spill_count: 0
    .symbol:         _Z16embed_kernel_vecILi8EEvPK14__hip_bfloat16PKiPfii.kd
    .uniform_work_group_size: 1
    .uses_dynamic_stack: false
    .vgpr_count:     17
    .vgpr_spill_count: 0
    .wavefront_size: 64
  - .args:
      - .actual_access:  read_only
        .address_space:  global
        .offset:         0
        .size:           8
        .value_kind:     global_buffer
      - .actual_access:  read_only
        .address_space:  global
        .offset:         8
        .size:           8
        .value_kind:     global_buffer
      - .actual_access:  write_only
        .address_space:  global
        .offset:         16
        .size:           8
        .value_kind:     global_buffer
      - .offset:         24
        .size:           4
        .value_kind:     by_value
      - .offset:         28
        .size:           4
        .value_kind:     by_value
      - .offset:         32
        .size:           4
        .value_kind:     hidden_block_count_x
      - .offset:         36
        .size:           4
        .value_kind:     hidden_block_count_y
      - .offset:         40
        .size:           4
        .value_kind:     hidden_block_count_z
      - .offset:         44
        .size:           2
        .value_kind:     hidden_group_size_x
      - .offset:         46
        .size:           2
        .value_kind:     hidden_group_size_y
      - .offset:         48
        .size:           2
        .value_kind:     hidden_group_size_z
      - .offset:         50
        .size:           2
        .value_kind:     hidden_remainder_x
      - .offset:         52
        .size:           2
        .value_kind:     hidden_remainder_y
      - .offset:         54
        .size:           2
        .value_kind:     hidden_remainder_z
      - .offset:         72
        .size:           8
        .value_kind:     hidden_global_offset_x
      - .offset:         80
        .size:           8
        .value_kind:     hidden_global_offset_y
      - .offset:         88
        .size:           8
        .value_kind:     hidden_global_offset_z
      - .offset:         96
        .size:           2
        .value_kind:     hidden_grid_dims
    .group_segment_fixed_size: 0
    .kernarg_segment_align: 8
    .kernarg_segment_size: 288
    .language:       OpenCL C
    .language_version:
      - 2
      - 0
    .max_flat_workgroup_size: 256
    .name:           _Z16embed_kernel_vecILi2EEvPK14__hip_bfloat16PKiPfii
    .private_segment_fixed_size: 0
    .sgpr_count:     16
    .sgpr_spill_count: 0
    .symbol:         _Z16embed_kernel_vecILi2EEvPK14__hip_bfloat16PKiPfii.kd
    .uniform_work_group_size: 1
    .uses_dynamic_stack: false
    .vgpr_count:     8
    .vgpr_spill_count: 0
    .wavefront_size: 64
amdhsa.target:   amdgcn-amd-amdhsa--gfx906
amdhsa.version:
  - 1
  - 2
...

	.end_amdgpu_metadata
